;; amdgpu-corpus repo=ROCm/rocFFT kind=compiled arch=gfx1201 opt=O3
	.text
	.amdgcn_target "amdgcn-amd-amdhsa--gfx1201"
	.amdhsa_code_object_version 6
	.protected	fft_rtc_fwd_len396_factors_11_9_4_wgs_44_tpt_44_dp_op_CI_CI_unitstride_sbrr_R2C_dirReg ; -- Begin function fft_rtc_fwd_len396_factors_11_9_4_wgs_44_tpt_44_dp_op_CI_CI_unitstride_sbrr_R2C_dirReg
	.globl	fft_rtc_fwd_len396_factors_11_9_4_wgs_44_tpt_44_dp_op_CI_CI_unitstride_sbrr_R2C_dirReg
	.p2align	8
	.type	fft_rtc_fwd_len396_factors_11_9_4_wgs_44_tpt_44_dp_op_CI_CI_unitstride_sbrr_R2C_dirReg,@function
fft_rtc_fwd_len396_factors_11_9_4_wgs_44_tpt_44_dp_op_CI_CI_unitstride_sbrr_R2C_dirReg: ; @fft_rtc_fwd_len396_factors_11_9_4_wgs_44_tpt_44_dp_op_CI_CI_unitstride_sbrr_R2C_dirReg
; %bb.0:
	s_clause 0x2
	s_load_b128 s[8:11], s[0:1], 0x0
	s_load_b128 s[4:7], s[0:1], 0x58
	;; [unrolled: 1-line block ×3, first 2 shown]
	v_mul_u32_u24_e32 v1, 0x5d2, v0
	v_mov_b32_e32 v3, 0
	s_delay_alu instid0(VALU_DEP_2) | instskip(NEXT) | instid1(VALU_DEP_1)
	v_lshrrev_b32_e32 v1, 16, v1
	v_add_nc_u32_e32 v5, ttmp9, v1
	v_mov_b32_e32 v1, 0
	v_mov_b32_e32 v2, 0
	;; [unrolled: 1-line block ×3, first 2 shown]
	s_wait_kmcnt 0x0
	v_cmp_lt_u64_e64 s2, s[10:11], 2
	s_delay_alu instid0(VALU_DEP_1)
	s_and_b32 vcc_lo, exec_lo, s2
	s_cbranch_vccnz .LBB0_8
; %bb.1:
	s_load_b64 s[2:3], s[0:1], 0x10
	v_mov_b32_e32 v1, 0
	v_mov_b32_e32 v2, 0
	s_add_nc_u64 s[16:17], s[14:15], 8
	s_add_nc_u64 s[18:19], s[12:13], 8
	s_mov_b64 s[20:21], 1
	s_delay_alu instid0(VALU_DEP_1)
	v_dual_mov_b32 v53, v2 :: v_dual_mov_b32 v52, v1
	s_wait_kmcnt 0x0
	s_add_nc_u64 s[22:23], s[2:3], 8
	s_mov_b32 s3, 0
.LBB0_2:                                ; =>This Inner Loop Header: Depth=1
	s_load_b64 s[24:25], s[22:23], 0x0
                                        ; implicit-def: $vgpr56_vgpr57
	s_mov_b32 s2, exec_lo
	s_wait_kmcnt 0x0
	v_or_b32_e32 v4, s25, v6
	s_delay_alu instid0(VALU_DEP_1)
	v_cmpx_ne_u64_e32 0, v[3:4]
	s_wait_alu 0xfffe
	s_xor_b32 s26, exec_lo, s2
	s_cbranch_execz .LBB0_4
; %bb.3:                                ;   in Loop: Header=BB0_2 Depth=1
	s_cvt_f32_u32 s2, s24
	s_cvt_f32_u32 s27, s25
	s_sub_nc_u64 s[30:31], 0, s[24:25]
	s_wait_alu 0xfffe
	s_delay_alu instid0(SALU_CYCLE_1) | instskip(SKIP_1) | instid1(SALU_CYCLE_2)
	s_fmamk_f32 s2, s27, 0x4f800000, s2
	s_wait_alu 0xfffe
	v_s_rcp_f32 s2, s2
	s_delay_alu instid0(TRANS32_DEP_1) | instskip(SKIP_1) | instid1(SALU_CYCLE_2)
	s_mul_f32 s2, s2, 0x5f7ffffc
	s_wait_alu 0xfffe
	s_mul_f32 s27, s2, 0x2f800000
	s_wait_alu 0xfffe
	s_delay_alu instid0(SALU_CYCLE_2) | instskip(SKIP_1) | instid1(SALU_CYCLE_2)
	s_trunc_f32 s27, s27
	s_wait_alu 0xfffe
	s_fmamk_f32 s2, s27, 0xcf800000, s2
	s_cvt_u32_f32 s29, s27
	s_wait_alu 0xfffe
	s_delay_alu instid0(SALU_CYCLE_1) | instskip(SKIP_1) | instid1(SALU_CYCLE_2)
	s_cvt_u32_f32 s28, s2
	s_wait_alu 0xfffe
	s_mul_u64 s[34:35], s[30:31], s[28:29]
	s_wait_alu 0xfffe
	s_mul_hi_u32 s37, s28, s35
	s_mul_i32 s36, s28, s35
	s_mul_hi_u32 s2, s28, s34
	s_mul_i32 s33, s29, s34
	s_wait_alu 0xfffe
	s_add_nc_u64 s[36:37], s[2:3], s[36:37]
	s_mul_hi_u32 s27, s29, s34
	s_mul_hi_u32 s38, s29, s35
	s_add_co_u32 s2, s36, s33
	s_wait_alu 0xfffe
	s_add_co_ci_u32 s2, s37, s27
	s_mul_i32 s34, s29, s35
	s_add_co_ci_u32 s35, s38, 0
	s_wait_alu 0xfffe
	s_add_nc_u64 s[34:35], s[2:3], s[34:35]
	s_wait_alu 0xfffe
	v_add_co_u32 v4, s2, s28, s34
	s_delay_alu instid0(VALU_DEP_1) | instskip(SKIP_1) | instid1(VALU_DEP_1)
	s_cmp_lg_u32 s2, 0
	s_add_co_ci_u32 s29, s29, s35
	v_readfirstlane_b32 s28, v4
	s_wait_alu 0xfffe
	s_delay_alu instid0(VALU_DEP_1)
	s_mul_u64 s[30:31], s[30:31], s[28:29]
	s_wait_alu 0xfffe
	s_mul_hi_u32 s35, s28, s31
	s_mul_i32 s34, s28, s31
	s_mul_hi_u32 s2, s28, s30
	s_mul_i32 s33, s29, s30
	s_wait_alu 0xfffe
	s_add_nc_u64 s[34:35], s[2:3], s[34:35]
	s_mul_hi_u32 s27, s29, s30
	s_mul_hi_u32 s28, s29, s31
	s_wait_alu 0xfffe
	s_add_co_u32 s2, s34, s33
	s_add_co_ci_u32 s2, s35, s27
	s_mul_i32 s30, s29, s31
	s_add_co_ci_u32 s31, s28, 0
	s_wait_alu 0xfffe
	s_add_nc_u64 s[30:31], s[2:3], s[30:31]
	s_wait_alu 0xfffe
	v_add_co_u32 v4, s2, v4, s30
	s_delay_alu instid0(VALU_DEP_1) | instskip(SKIP_1) | instid1(VALU_DEP_1)
	s_cmp_lg_u32 s2, 0
	s_add_co_ci_u32 s2, s29, s31
	v_mul_hi_u32 v13, v5, v4
	s_wait_alu 0xfffe
	v_mad_co_u64_u32 v[7:8], null, v5, s2, 0
	v_mad_co_u64_u32 v[9:10], null, v6, v4, 0
	;; [unrolled: 1-line block ×3, first 2 shown]
	s_delay_alu instid0(VALU_DEP_3) | instskip(SKIP_1) | instid1(VALU_DEP_4)
	v_add_co_u32 v4, vcc_lo, v13, v7
	s_wait_alu 0xfffd
	v_add_co_ci_u32_e32 v7, vcc_lo, 0, v8, vcc_lo
	s_delay_alu instid0(VALU_DEP_2) | instskip(SKIP_1) | instid1(VALU_DEP_2)
	v_add_co_u32 v4, vcc_lo, v4, v9
	s_wait_alu 0xfffd
	v_add_co_ci_u32_e32 v4, vcc_lo, v7, v10, vcc_lo
	s_wait_alu 0xfffd
	v_add_co_ci_u32_e32 v7, vcc_lo, 0, v12, vcc_lo
	s_delay_alu instid0(VALU_DEP_2) | instskip(SKIP_1) | instid1(VALU_DEP_2)
	v_add_co_u32 v4, vcc_lo, v4, v11
	s_wait_alu 0xfffd
	v_add_co_ci_u32_e32 v9, vcc_lo, 0, v7, vcc_lo
	s_delay_alu instid0(VALU_DEP_2) | instskip(SKIP_1) | instid1(VALU_DEP_3)
	v_mul_lo_u32 v10, s25, v4
	v_mad_co_u64_u32 v[7:8], null, s24, v4, 0
	v_mul_lo_u32 v11, s24, v9
	s_delay_alu instid0(VALU_DEP_2) | instskip(NEXT) | instid1(VALU_DEP_2)
	v_sub_co_u32 v7, vcc_lo, v5, v7
	v_add3_u32 v8, v8, v11, v10
	s_delay_alu instid0(VALU_DEP_1) | instskip(SKIP_1) | instid1(VALU_DEP_1)
	v_sub_nc_u32_e32 v10, v6, v8
	s_wait_alu 0xfffd
	v_subrev_co_ci_u32_e64 v10, s2, s25, v10, vcc_lo
	v_add_co_u32 v11, s2, v4, 2
	s_wait_alu 0xf1ff
	v_add_co_ci_u32_e64 v12, s2, 0, v9, s2
	v_sub_co_u32 v13, s2, v7, s24
	v_sub_co_ci_u32_e32 v8, vcc_lo, v6, v8, vcc_lo
	s_wait_alu 0xf1ff
	v_subrev_co_ci_u32_e64 v10, s2, 0, v10, s2
	s_delay_alu instid0(VALU_DEP_3) | instskip(NEXT) | instid1(VALU_DEP_3)
	v_cmp_le_u32_e32 vcc_lo, s24, v13
	v_cmp_eq_u32_e64 s2, s25, v8
	s_wait_alu 0xfffd
	v_cndmask_b32_e64 v13, 0, -1, vcc_lo
	v_cmp_le_u32_e32 vcc_lo, s25, v10
	s_wait_alu 0xfffd
	v_cndmask_b32_e64 v14, 0, -1, vcc_lo
	v_cmp_le_u32_e32 vcc_lo, s24, v7
	;; [unrolled: 3-line block ×3, first 2 shown]
	s_wait_alu 0xfffd
	v_cndmask_b32_e64 v15, 0, -1, vcc_lo
	v_cmp_eq_u32_e32 vcc_lo, s25, v10
	s_wait_alu 0xf1ff
	s_delay_alu instid0(VALU_DEP_2)
	v_cndmask_b32_e64 v7, v15, v7, s2
	s_wait_alu 0xfffd
	v_cndmask_b32_e32 v10, v14, v13, vcc_lo
	v_add_co_u32 v13, vcc_lo, v4, 1
	s_wait_alu 0xfffd
	v_add_co_ci_u32_e32 v14, vcc_lo, 0, v9, vcc_lo
	s_delay_alu instid0(VALU_DEP_3) | instskip(SKIP_1) | instid1(VALU_DEP_2)
	v_cmp_ne_u32_e32 vcc_lo, 0, v10
	s_wait_alu 0xfffd
	v_cndmask_b32_e32 v8, v14, v12, vcc_lo
	v_cndmask_b32_e32 v10, v13, v11, vcc_lo
	v_cmp_ne_u32_e32 vcc_lo, 0, v7
	s_wait_alu 0xfffd
	s_delay_alu instid0(VALU_DEP_2)
	v_dual_cndmask_b32 v57, v9, v8 :: v_dual_cndmask_b32 v56, v4, v10
.LBB0_4:                                ;   in Loop: Header=BB0_2 Depth=1
	s_wait_alu 0xfffe
	s_and_not1_saveexec_b32 s2, s26
	s_cbranch_execz .LBB0_6
; %bb.5:                                ;   in Loop: Header=BB0_2 Depth=1
	v_cvt_f32_u32_e32 v4, s24
	s_sub_co_i32 s26, 0, s24
	v_mov_b32_e32 v57, v3
	s_delay_alu instid0(VALU_DEP_2) | instskip(NEXT) | instid1(TRANS32_DEP_1)
	v_rcp_iflag_f32_e32 v4, v4
	v_mul_f32_e32 v4, 0x4f7ffffe, v4
	s_delay_alu instid0(VALU_DEP_1) | instskip(SKIP_1) | instid1(VALU_DEP_1)
	v_cvt_u32_f32_e32 v4, v4
	s_wait_alu 0xfffe
	v_mul_lo_u32 v7, s26, v4
	s_delay_alu instid0(VALU_DEP_1) | instskip(NEXT) | instid1(VALU_DEP_1)
	v_mul_hi_u32 v7, v4, v7
	v_add_nc_u32_e32 v4, v4, v7
	s_delay_alu instid0(VALU_DEP_1) | instskip(NEXT) | instid1(VALU_DEP_1)
	v_mul_hi_u32 v4, v5, v4
	v_mul_lo_u32 v7, v4, s24
	v_add_nc_u32_e32 v8, 1, v4
	s_delay_alu instid0(VALU_DEP_2) | instskip(NEXT) | instid1(VALU_DEP_1)
	v_sub_nc_u32_e32 v7, v5, v7
	v_subrev_nc_u32_e32 v9, s24, v7
	v_cmp_le_u32_e32 vcc_lo, s24, v7
	s_wait_alu 0xfffd
	s_delay_alu instid0(VALU_DEP_2) | instskip(NEXT) | instid1(VALU_DEP_1)
	v_dual_cndmask_b32 v7, v7, v9 :: v_dual_cndmask_b32 v4, v4, v8
	v_cmp_le_u32_e32 vcc_lo, s24, v7
	s_delay_alu instid0(VALU_DEP_2) | instskip(SKIP_1) | instid1(VALU_DEP_1)
	v_add_nc_u32_e32 v8, 1, v4
	s_wait_alu 0xfffd
	v_cndmask_b32_e32 v56, v4, v8, vcc_lo
.LBB0_6:                                ;   in Loop: Header=BB0_2 Depth=1
	s_wait_alu 0xfffe
	s_or_b32 exec_lo, exec_lo, s2
	v_mul_lo_u32 v4, v57, s24
	s_delay_alu instid0(VALU_DEP_2)
	v_mul_lo_u32 v9, v56, s25
	s_load_b64 s[26:27], s[18:19], 0x0
	v_mad_co_u64_u32 v[7:8], null, v56, s24, 0
	s_load_b64 s[24:25], s[16:17], 0x0
	s_add_nc_u64 s[20:21], s[20:21], 1
	s_add_nc_u64 s[16:17], s[16:17], 8
	s_wait_alu 0xfffe
	v_cmp_ge_u64_e64 s2, s[20:21], s[10:11]
	s_add_nc_u64 s[18:19], s[18:19], 8
	s_add_nc_u64 s[22:23], s[22:23], 8
	v_add3_u32 v4, v8, v9, v4
	v_sub_co_u32 v5, vcc_lo, v5, v7
	s_wait_alu 0xfffd
	s_delay_alu instid0(VALU_DEP_2) | instskip(SKIP_2) | instid1(VALU_DEP_1)
	v_sub_co_ci_u32_e32 v4, vcc_lo, v6, v4, vcc_lo
	s_and_b32 vcc_lo, exec_lo, s2
	s_wait_kmcnt 0x0
	v_mul_lo_u32 v6, s26, v4
	v_mul_lo_u32 v7, s27, v5
	v_mad_co_u64_u32 v[1:2], null, s26, v5, v[1:2]
	v_mul_lo_u32 v4, s24, v4
	v_mul_lo_u32 v8, s25, v5
	v_mad_co_u64_u32 v[52:53], null, s24, v5, v[52:53]
	s_delay_alu instid0(VALU_DEP_4) | instskip(NEXT) | instid1(VALU_DEP_2)
	v_add3_u32 v2, v7, v2, v6
	v_add3_u32 v53, v8, v53, v4
	s_wait_alu 0xfffe
	s_cbranch_vccnz .LBB0_9
; %bb.7:                                ;   in Loop: Header=BB0_2 Depth=1
	v_dual_mov_b32 v5, v56 :: v_dual_mov_b32 v6, v57
	s_branch .LBB0_2
.LBB0_8:
	v_dual_mov_b32 v53, v2 :: v_dual_mov_b32 v52, v1
	v_dual_mov_b32 v57, v6 :: v_dual_mov_b32 v56, v5
.LBB0_9:
	s_load_b64 s[0:1], s[0:1], 0x28
	v_mul_hi_u32 v3, 0x5d1745e, v0
                                        ; implicit-def: $vgpr54
	s_wait_kmcnt 0x0
	s_delay_alu instid0(VALU_DEP_2) | instskip(SKIP_1) | instid1(VALU_DEP_1)
	v_cmp_gt_u64_e32 vcc_lo, s[0:1], v[56:57]
	v_cmp_le_u64_e64 s0, s[0:1], v[56:57]
	s_and_saveexec_b32 s1, s0
	s_wait_alu 0xfffe
	s_xor_b32 s0, exec_lo, s1
; %bb.10:
	s_delay_alu instid0(VALU_DEP_3) | instskip(NEXT) | instid1(VALU_DEP_1)
	v_mul_u32_u24_e32 v1, 44, v3
                                        ; implicit-def: $vgpr3
	v_sub_nc_u32_e32 v54, v0, v1
                                        ; implicit-def: $vgpr0
                                        ; implicit-def: $vgpr1_vgpr2
; %bb.11:
	s_wait_alu 0xfffe
	s_or_saveexec_b32 s1, s0
	s_lshl_b64 s[2:3], s[10:11], 3
	s_wait_alu 0xfffe
	s_xor_b32 exec_lo, exec_lo, s1
	s_cbranch_execz .LBB0_13
; %bb.12:
	s_add_nc_u64 s[10:11], s[12:13], s[2:3]
	v_lshlrev_b64_e32 v[1:2], 4, v[1:2]
	s_load_b64 s[10:11], s[10:11], 0x0
	s_wait_kmcnt 0x0
	v_mul_lo_u32 v6, s11, v56
	v_mul_lo_u32 v7, s10, v57
	v_mad_co_u64_u32 v[4:5], null, s10, v56, 0
	s_delay_alu instid0(VALU_DEP_1) | instskip(SKIP_1) | instid1(VALU_DEP_2)
	v_add3_u32 v5, v5, v7, v6
	v_mul_u32_u24_e32 v6, 44, v3
	v_lshlrev_b64_e32 v[3:4], 4, v[4:5]
	s_delay_alu instid0(VALU_DEP_2) | instskip(NEXT) | instid1(VALU_DEP_1)
	v_sub_nc_u32_e32 v54, v0, v6
	v_lshlrev_b32_e32 v36, 4, v54
	s_delay_alu instid0(VALU_DEP_3) | instskip(SKIP_1) | instid1(VALU_DEP_4)
	v_add_co_u32 v0, s0, s4, v3
	s_wait_alu 0xf1ff
	v_add_co_ci_u32_e64 v3, s0, s5, v4, s0
	s_delay_alu instid0(VALU_DEP_2) | instskip(SKIP_1) | instid1(VALU_DEP_2)
	v_add_co_u32 v0, s0, v0, v1
	s_wait_alu 0xf1ff
	v_add_co_ci_u32_e64 v1, s0, v3, v2, s0
	s_delay_alu instid0(VALU_DEP_2) | instskip(SKIP_1) | instid1(VALU_DEP_2)
	v_add_co_u32 v32, s0, v0, v36
	s_wait_alu 0xf1ff
	v_add_co_ci_u32_e64 v33, s0, 0, v1, s0
	s_clause 0x8
	global_load_b128 v[0:3], v[32:33], off
	global_load_b128 v[4:7], v[32:33], off offset:704
	global_load_b128 v[8:11], v[32:33], off offset:1408
	;; [unrolled: 1-line block ×8, first 2 shown]
	v_add_nc_u32_e32 v36, 0, v36
	s_wait_loadcnt 0x8
	ds_store_b128 v36, v[0:3]
	s_wait_loadcnt 0x7
	ds_store_b128 v36, v[4:7] offset:704
	s_wait_loadcnt 0x6
	ds_store_b128 v36, v[8:11] offset:1408
	s_wait_loadcnt 0x5
	ds_store_b128 v36, v[12:15] offset:2112
	s_wait_loadcnt 0x4
	ds_store_b128 v36, v[16:19] offset:2816
	s_wait_loadcnt 0x3
	ds_store_b128 v36, v[20:23] offset:3520
	s_wait_loadcnt 0x2
	ds_store_b128 v36, v[24:27] offset:4224
	s_wait_loadcnt 0x1
	ds_store_b128 v36, v[28:31] offset:4928
	s_wait_loadcnt 0x0
	ds_store_b128 v36, v[32:35] offset:5632
.LBB0_13:
	s_or_b32 exec_lo, exec_lo, s1
	v_lshl_add_u32 v138, v54, 4, 0
	global_wb scope:SCOPE_SE
	s_wait_dscnt 0x0
	s_barrier_signal -1
	s_barrier_wait -1
	global_inv scope:SCOPE_SE
	ds_load_b128 v[8:11], v138 offset:5760
	ds_load_b128 v[32:35], v138 offset:576
	ds_load_b128 v[20:23], v138
	ds_load_b128 v[12:15], v138 offset:5184
	ds_load_b128 v[44:47], v138 offset:1152
	s_mov_b32 s10, 0xf8bb580b
	s_mov_b32 s4, 0x8eee2c13
	;; [unrolled: 1-line block ×4, first 2 shown]
	ds_load_b128 v[40:43], v138 offset:1728
	ds_load_b128 v[16:19], v138 offset:4608
	s_mov_b32 s22, 0x8764f0ba
	s_mov_b32 s12, 0xd9c712b6
	;; [unrolled: 1-line block ×6, first 2 shown]
	ds_load_b128 v[24:27], v138 offset:4032
	ds_load_b128 v[48:51], v138 offset:2304
	s_mov_b32 s20, 0x43842ef
	s_mov_b32 s18, 0x7f775887
	;; [unrolled: 1-line block ×5, first 2 shown]
	s_wait_dscnt 0x7
	v_add_f64_e64 v[128:129], v[34:35], -v[10:11]
	v_add_f64_e64 v[116:117], v[32:33], -v[8:9]
	s_wait_dscnt 0x4
	v_add_f64_e64 v[60:61], v[46:47], -v[14:15]
	v_add_f64_e64 v[68:69], v[44:45], -v[12:13]
	v_add_f64_e32 v[120:121], v[32:33], v[8:9]
	v_add_f64_e32 v[132:133], v[34:35], v[10:11]
	;; [unrolled: 1-line block ×3, first 2 shown]
	s_wait_dscnt 0x2
	v_add_f64_e64 v[98:99], v[42:43], -v[18:19]
	v_add_f64_e64 v[112:113], v[40:41], -v[16:17]
	v_add_f64_e32 v[126:127], v[46:47], v[14:15]
	s_mov_b32 s29, 0x3fd207e7
	v_add_f64_e32 v[96:97], v[40:41], v[16:17]
	v_add_f64_e32 v[130:131], v[42:43], v[18:19]
	ds_load_b128 v[36:39], v138 offset:2880
	ds_load_b128 v[28:31], v138 offset:3456
	s_wait_dscnt 0x2
	v_add_f64_e64 v[88:89], v[50:51], -v[26:27]
	v_add_f64_e64 v[62:63], v[48:49], -v[24:25]
	s_mov_b32 s24, 0x640f44db
	s_mov_b32 s30, 0x9bcd5057
	;; [unrolled: 1-line block ×5, first 2 shown]
	s_wait_alu 0xfffe
	s_mov_b32 s26, s20
	v_add_f64_e32 v[74:75], v[48:49], v[24:25]
	v_add_f64_e32 v[102:103], v[50:51], v[26:27]
	s_mov_b32 s35, 0xbfd207e7
	s_mov_b32 s37, 0x3fe14ced
	s_mov_b32 s34, s28
	s_mov_b32 s36, s10
	s_add_nc_u64 s[2:3], s[14:15], s[2:3]
	s_mov_b32 s33, exec_lo
	global_wb scope:SCOPE_SE
	s_wait_dscnt 0x0
	s_barrier_signal -1
	s_barrier_wait -1
	v_add_f64_e64 v[86:87], v[38:39], -v[30:31]
	v_add_f64_e64 v[58:59], v[36:37], -v[28:29]
	v_add_f64_e32 v[90:91], v[38:39], v[30:31]
	global_inv scope:SCOPE_SE
	v_mul_f64_e32 v[118:119], s[10:11], v[128:129]
	v_mul_f64_e32 v[122:123], s[10:11], v[116:117]
	v_mul_f64_e32 v[134:135], s[4:5], v[128:129]
	v_mul_f64_e32 v[136:137], s[4:5], v[116:117]
	v_mul_f64_e32 v[92:93], s[4:5], v[60:61]
	v_mul_f64_e32 v[100:101], s[4:5], v[68:69]
	v_mul_f64_e32 v[104:105], s[16:17], v[60:61]
	v_mul_f64_e32 v[110:111], s[16:17], v[68:69]
	v_mul_f64_e32 v[106:107], s[20:21], v[98:99]
	v_mul_f64_e32 v[108:109], s[20:21], v[112:113]
	v_mul_f64_e32 v[114:115], s[28:29], v[98:99]
	v_mul_f64_e32 v[124:125], s[28:29], v[112:113]
	v_mul_f64_e32 v[78:79], s[16:17], v[88:89]
	v_mul_f64_e32 v[80:81], s[16:17], v[62:63]
	s_wait_alu 0xfffe
	v_mul_f64_e32 v[82:83], s[26:27], v[88:89]
	v_mul_f64_e32 v[84:85], s[26:27], v[62:63]
	;; [unrolled: 1-line block ×3, first 2 shown]
	v_fma_f64 v[0:1], v[120:121], s[22:23], v[118:119]
	v_fma_f64 v[2:3], v[132:133], s[22:23], -v[122:123]
	v_fma_f64 v[4:5], v[120:121], s[12:13], v[134:135]
	v_fma_f64 v[6:7], v[132:133], s[12:13], -v[136:137]
	;; [unrolled: 2-line block ×8, first 2 shown]
	v_add_f64_e32 v[0:1], v[20:21], v[0:1]
	v_add_f64_e32 v[2:3], v[22:23], v[2:3]
	;; [unrolled: 1-line block ×4, first 2 shown]
	s_delay_alu instid0(VALU_DEP_4) | instskip(NEXT) | instid1(VALU_DEP_4)
	v_add_f64_e32 v[0:1], v[64:65], v[0:1]
	v_add_f64_e32 v[2:3], v[66:67], v[2:3]
	s_delay_alu instid0(VALU_DEP_4) | instskip(NEXT) | instid1(VALU_DEP_4)
	v_add_f64_e32 v[4:5], v[70:71], v[4:5]
	v_add_f64_e32 v[6:7], v[72:73], v[6:7]
	;; [unrolled: 1-line block ×3, first 2 shown]
	v_mul_f64_e32 v[66:67], s[34:35], v[86:87]
	v_mul_f64_e32 v[70:71], s[34:35], v[58:59]
	;; [unrolled: 1-line block ×3, first 2 shown]
	v_add_f64_e32 v[0:1], v[139:140], v[0:1]
	v_add_f64_e32 v[2:3], v[141:142], v[2:3]
	;; [unrolled: 1-line block ×4, first 2 shown]
	v_fma_f64 v[145:146], v[90:91], s[22:23], -v[76:77]
	v_fma_f64 v[139:140], v[64:65], s[30:31], v[66:67]
	v_fma_f64 v[141:142], v[90:91], s[30:31], -v[70:71]
	v_fma_f64 v[143:144], v[64:65], s[22:23], v[72:73]
	v_add_f64_e32 v[0:1], v[147:148], v[0:1]
	v_add_f64_e32 v[2:3], v[149:150], v[2:3]
	;; [unrolled: 1-line block ×4, first 2 shown]
	s_delay_alu instid0(VALU_DEP_4) | instskip(NEXT) | instid1(VALU_DEP_4)
	v_add_f64_e32 v[4:5], v[139:140], v[0:1]
	v_add_f64_e32 v[6:7], v[141:142], v[2:3]
	s_delay_alu instid0(VALU_DEP_4) | instskip(NEXT) | instid1(VALU_DEP_4)
	v_add_f64_e32 v[0:1], v[143:144], v[147:148]
	v_add_f64_e32 v[2:3], v[145:146], v[149:150]
	v_cmpx_gt_u32_e32 36, v54
	s_cbranch_execz .LBB0_15
; %bb.14:
	v_add_f64_e32 v[34:35], v[22:23], v[34:35]
	v_add_f64_e32 v[32:33], v[20:21], v[32:33]
	v_mul_f64_e32 v[139:140], s[18:19], v[132:133]
	v_mul_f64_e32 v[141:142], s[16:17], v[128:129]
	;; [unrolled: 1-line block ×6, first 2 shown]
	s_mov_b32 s1, 0x3fe82f19
	s_mov_b32 s0, s16
	;; [unrolled: 1-line block ×4, first 2 shown]
	v_mul_f64_e32 v[161:162], s[18:19], v[94:95]
	v_mul_f64_e32 v[163:164], s[36:37], v[60:61]
	v_add_f64_e32 v[34:35], v[34:35], v[46:47]
	v_add_f64_e32 v[32:33], v[32:33], v[44:45]
	v_mul_f64_e32 v[44:45], s[30:31], v[132:133]
	v_mul_f64_e32 v[46:47], s[34:35], v[128:129]
	;; [unrolled: 1-line block ×4, first 2 shown]
	s_wait_alu 0xfffe
	v_fma_f64 v[153:154], v[116:117], s[0:1], v[139:140]
	v_fma_f64 v[155:156], v[120:121], s[18:19], v[141:142]
	v_fma_f64 v[139:140], v[116:117], s[16:17], v[139:140]
	v_fma_f64 v[141:142], v[120:121], s[18:19], -v[141:142]
	v_fma_f64 v[157:158], v[116:117], s[26:27], v[143:144]
	v_add_f64_e64 v[134:135], v[147:148], -v[134:135]
	v_add_f64_e64 v[118:119], v[149:150], -v[118:119]
	v_mul_f64_e32 v[147:148], s[18:19], v[126:127]
	v_mul_f64_e32 v[149:150], s[30:31], v[96:97]
	v_add_f64_e64 v[104:105], v[161:162], -v[104:105]
	v_mul_f64_e32 v[161:162], s[10:11], v[98:99]
	v_add_f64_e32 v[34:35], v[34:35], v[42:43]
	v_add_f64_e32 v[32:33], v[32:33], v[40:41]
	v_mul_f64_e32 v[40:41], s[18:19], v[130:131]
	v_fma_f64 v[42:43], v[116:117], s[28:29], v[44:45]
	v_fma_f64 v[151:152], v[120:121], s[30:31], v[46:47]
	;; [unrolled: 1-line block ×3, first 2 shown]
	v_fma_f64 v[46:47], v[120:121], s[30:31], -v[46:47]
	v_fma_f64 v[159:160], v[120:121], s[24:25], v[128:129]
	v_fma_f64 v[116:117], v[116:117], s[20:21], v[143:144]
	v_fma_f64 v[120:121], v[120:121], s[24:25], -v[128:129]
	v_add_f64_e32 v[128:129], v[136:137], v[145:146]
	v_add_f64_e32 v[122:123], v[122:123], v[132:133]
	v_mul_f64_e32 v[132:133], s[22:23], v[130:131]
	v_mul_f64_e32 v[136:137], s[12:13], v[130:131]
	;; [unrolled: 1-line block ×5, first 2 shown]
	v_add_f64_e32 v[153:154], v[22:23], v[153:154]
	v_add_f64_e32 v[155:156], v[20:21], v[155:156]
	v_add_f64_e32 v[139:140], v[22:23], v[139:140]
	v_add_f64_e32 v[141:142], v[20:21], v[141:142]
	v_add_f64_e32 v[157:158], v[22:23], v[157:158]
	v_add_f64_e32 v[134:135], v[20:21], v[134:135]
	v_add_f64_e32 v[110:111], v[110:111], v[147:148]
	v_mul_f64_e32 v[147:148], s[12:13], v[94:95]
	v_add_f64_e64 v[114:115], v[149:150], -v[114:115]
	v_mul_f64_e32 v[149:150], s[16:17], v[98:99]
	v_mul_f64_e32 v[98:99], s[14:15], v[98:99]
	v_add_f64_e32 v[34:35], v[34:35], v[50:51]
	v_add_f64_e32 v[32:33], v[32:33], v[48:49]
	v_mul_f64_e32 v[48:49], s[24:25], v[126:127]
	v_mul_f64_e32 v[50:51], s[30:31], v[126:127]
	;; [unrolled: 1-line block ×3, first 2 shown]
	v_fma_f64 v[165:166], v[112:113], s[0:1], v[40:41]
	v_fma_f64 v[40:41], v[112:113], s[16:17], v[40:41]
	v_add_f64_e32 v[42:43], v[22:23], v[42:43]
	v_add_f64_e32 v[151:152], v[20:21], v[151:152]
	;; [unrolled: 1-line block ×10, first 2 shown]
	v_fma_f64 v[118:119], v[112:113], s[36:37], v[132:133]
	v_fma_f64 v[122:123], v[112:113], s[10:11], v[132:133]
	;; [unrolled: 1-line block ×6, first 2 shown]
	v_add_f64_e32 v[124:125], v[124:125], v[145:146]
	v_mul_f64_e32 v[145:146], s[24:25], v[96:97]
	v_add_f64_e32 v[108:109], v[108:109], v[130:131]
	v_fma_f64 v[130:131], v[94:95], s[22:23], v[163:164]
	v_fma_f64 v[163:164], v[94:95], s[22:23], -v[163:164]
	v_add_f64_e64 v[92:93], v[147:148], -v[92:93]
	v_fma_f64 v[147:148], v[96:97], s[18:19], v[149:150]
	v_fma_f64 v[149:150], v[96:97], s[18:19], -v[149:150]
	v_add_f64_e32 v[104:105], v[104:105], v[134:135]
	v_mul_f64_e32 v[134:135], s[18:19], v[90:91]
	v_add_f64_e32 v[34:35], v[34:35], v[38:39]
	v_add_f64_e32 v[32:33], v[32:33], v[36:37]
	v_fma_f64 v[36:37], v[68:69], s[20:21], v[48:49]
	v_fma_f64 v[38:39], v[68:69], s[26:27], v[48:49]
	;; [unrolled: 1-line block ×4, first 2 shown]
	v_mul_f64_e32 v[68:69], s[26:27], v[60:61]
	v_mul_f64_e32 v[60:61], s[28:29], v[60:61]
	v_add_f64_e32 v[100:101], v[100:101], v[126:127]
	v_add_f64_e32 v[110:111], v[110:111], v[128:129]
	v_mul_f64_e32 v[128:129], s[12:13], v[90:91]
	v_add_f64_e32 v[42:43], v[136:137], v[42:43]
	v_mul_f64_e32 v[136:137], s[22:23], v[102:103]
	v_add_f64_e32 v[44:45], v[143:144], v[44:45]
	v_add_f64_e64 v[106:107], v[145:146], -v[106:107]
	v_mul_f64_e32 v[143:144], s[24:25], v[74:75]
	v_add_f64_e32 v[130:131], v[130:131], v[151:152]
	v_mul_f64_e32 v[151:152], s[24:25], v[102:103]
	v_add_f64_e32 v[46:47], v[163:164], v[46:47]
	;; [unrolled: 2-line block ×3, first 2 shown]
	v_add_f64_e32 v[104:105], v[114:115], v[104:105]
	v_add_f64_e32 v[30:31], v[34:35], v[30:31]
	;; [unrolled: 1-line block ×3, first 2 shown]
	v_fma_f64 v[32:33], v[96:97], s[22:23], v[161:162]
	v_fma_f64 v[34:35], v[96:97], s[22:23], -v[161:162]
	v_fma_f64 v[161:162], v[96:97], s[12:13], v[98:99]
	v_fma_f64 v[96:97], v[96:97], s[12:13], -v[98:99]
	;; [unrolled: 2-line block ×3, first 2 shown]
	v_fma_f64 v[68:69], v[94:95], s[24:25], -v[68:69]
	v_fma_f64 v[60:61], v[94:95], s[30:31], v[60:61]
	v_mul_f64_e32 v[94:95], s[12:13], v[102:103]
	v_mul_f64_e32 v[98:99], s[30:31], v[102:103]
	v_add_f64_e32 v[50:51], v[50:51], v[116:117]
	v_mul_f64_e32 v[102:103], s[18:19], v[102:103]
	v_add_f64_e32 v[36:37], v[36:37], v[153:154]
	;; [unrolled: 2-line block ×3, first 2 shown]
	v_add_f64_e32 v[48:49], v[48:49], v[157:158]
	v_add_f64_e32 v[22:23], v[100:101], v[22:23]
	v_mul_f64_e32 v[139:140], s[24:25], v[90:91]
	v_mul_f64_e32 v[116:117], s[20:21], v[86:87]
	v_add_f64_e32 v[42:43], v[165:166], v[42:43]
	v_fma_f64 v[157:158], v[62:63], s[36:37], v[136:137]
	v_add_f64_e32 v[40:41], v[40:41], v[44:45]
	v_add_f64_e64 v[82:83], v[143:144], -v[82:83]
	v_add_f64_e32 v[84:85], v[84:85], v[151:152]
	v_add_f64_e32 v[44:45], v[149:150], v[46:47]
	v_add_f64_e64 v[78:79], v[163:164], -v[78:79]
	v_add_f64_e32 v[20:21], v[106:107], v[20:21]
	v_add_f64_e32 v[26:27], v[30:31], v[26:27]
	;; [unrolled: 1-line block ×3, first 2 shown]
	v_mul_f64_e32 v[28:29], s[22:23], v[90:91]
	v_mul_f64_e32 v[30:31], s[22:23], v[64:65]
	v_add_f64_e32 v[126:127], v[126:127], v[155:156]
	v_mul_f64_e32 v[155:156], s[10:11], v[88:89]
	v_mul_f64_e32 v[88:89], s[14:15], v[88:89]
	v_add_f64_e32 v[120:121], v[145:146], v[120:121]
	v_add_f64_e32 v[68:69], v[68:69], v[141:142]
	;; [unrolled: 1-line block ×3, first 2 shown]
	v_fma_f64 v[92:93], v[62:63], s[4:5], v[94:95]
	v_fma_f64 v[94:95], v[62:63], s[14:15], v[94:95]
	;; [unrolled: 1-line block ×5, first 2 shown]
	v_add_f64_e32 v[46:47], v[112:113], v[50:51]
	v_add_f64_e32 v[50:51], v[124:125], v[110:111]
	v_mul_f64_e32 v[145:146], s[16:17], v[86:87]
	v_add_f64_e32 v[80:81], v[80:81], v[102:103]
	v_fma_f64 v[102:103], v[74:75], s[30:31], v[153:154]
	v_fma_f64 v[136:137], v[74:75], s[30:31], -v[153:154]
	v_mul_f64_e32 v[86:87], s[14:15], v[86:87]
	v_add_f64_e32 v[38:39], v[122:123], v[38:39]
	v_add_f64_e32 v[36:37], v[118:119], v[36:37]
	v_add_f64_e32 v[48:49], v[132:133], v[48:49]
	v_mul_f64_e32 v[141:142], s[30:31], v[90:91]
	v_mul_f64_e32 v[90:91], s[30:31], v[64:65]
	v_add_f64_e32 v[22:23], v[108:109], v[22:23]
	v_fma_f64 v[106:107], v[64:65], s[24:25], -v[116:117]
	v_fma_f64 v[108:109], v[58:59], s[4:5], v[128:129]
	v_fma_f64 v[110:111], v[58:59], s[14:15], v[128:129]
	;; [unrolled: 1-line block ×3, first 2 shown]
	v_add_f64_e32 v[78:79], v[78:79], v[20:21]
	v_add_f64_e32 v[18:19], v[26:27], v[18:19]
	;; [unrolled: 1-line block ×4, first 2 shown]
	v_add_f64_e64 v[72:73], v[30:31], -v[72:73]
	v_fma_f64 v[24:25], v[58:59], s[26:27], v[139:140]
	v_fma_f64 v[26:27], v[64:65], s[24:25], v[116:117]
	v_add_f64_e32 v[32:33], v[32:33], v[126:127]
	v_fma_f64 v[143:144], v[74:75], s[22:23], v[155:156]
	v_fma_f64 v[151:152], v[74:75], s[22:23], -v[155:156]
	v_fma_f64 v[153:154], v[74:75], s[12:13], v[88:89]
	v_fma_f64 v[74:75], v[74:75], s[12:13], -v[88:89]
	v_add_f64_e32 v[96:97], v[96:97], v[120:121]
	v_add_f64_e32 v[88:89], v[147:148], v[130:131]
	;; [unrolled: 1-line block ×4, first 2 shown]
	v_fma_f64 v[68:69], v[58:59], s[20:21], v[139:140]
	v_fma_f64 v[58:59], v[58:59], s[16:17], v[134:135]
	v_add_f64_e32 v[46:47], v[62:63], v[46:47]
	v_add_f64_e32 v[50:51], v[84:85], v[50:51]
	;; [unrolled: 1-line block ×3, first 2 shown]
	v_fma_f64 v[116:117], v[64:65], s[18:19], -v[145:146]
	v_add_f64_e32 v[30:31], v[92:93], v[42:43]
	v_fma_f64 v[114:115], v[64:65], s[18:19], v[145:146]
	v_fma_f64 v[76:77], v[64:65], s[12:13], v[86:87]
	v_fma_f64 v[64:65], v[64:65], s[12:13], -v[86:87]
	v_add_f64_e32 v[38:39], v[98:99], v[38:39]
	v_add_f64_e32 v[40:41], v[94:95], v[40:41]
	v_add_f64_e32 v[36:37], v[100:101], v[36:37]
	v_add_f64_e32 v[48:49], v[157:158], v[48:49]
	v_add_f64_e32 v[70:71], v[70:71], v[141:142]
	v_add_f64_e64 v[66:67], v[90:91], -v[66:67]
	v_add_f64_e32 v[80:81], v[80:81], v[22:23]
	v_add_f64_e32 v[86:87], v[18:19], v[14:15]
	;; [unrolled: 1-line block ×27, first 2 shown]
	v_mad_u32_u24 v44, 0xa0, v54, v138
	ds_store_b128 v44, v[32:35] offset:32
	ds_store_b128 v44, v[28:31] offset:48
	ds_store_b128 v44, v[24:27] offset:64
	ds_store_b128 v44, v[16:19] offset:80
	ds_store_b128 v44, v[12:15] offset:96
	ds_store_b128 v44, v[20:23] offset:112
	ds_store_b128 v44, v[0:3] offset:144
	ds_store_b128 v44, v[36:39] offset:128
	ds_store_b128 v44, v[40:43] offset:16
	ds_store_b128 v44, v[8:11]
	ds_store_b128 v44, v[4:7] offset:160
.LBB0_15:
	s_or_b32 exec_lo, exec_lo, s33
	v_and_b32_e32 v8, 0xff, v54
	s_load_b64 s[2:3], s[2:3], 0x0
	global_wb scope:SCOPE_SE
	s_wait_dscnt 0x0
	s_wait_kmcnt 0x0
	s_barrier_signal -1
	s_barrier_wait -1
	v_mul_lo_u16 v8, 0x75, v8
	global_inv scope:SCOPE_SE
	s_mov_b32 s0, 0x8c811c17
	s_mov_b32 s10, 0xa2cf5039
	;; [unrolled: 1-line block ×3, first 2 shown]
	v_lshrrev_b16 v8, 8, v8
	s_mov_b32 s4, 0x523c161c
	s_mov_b32 s1, 0x3fef838b
	;; [unrolled: 1-line block ×4, first 2 shown]
	v_sub_nc_u16 v9, v54, v8
	s_mov_b32 s13, 0xbfee11f6
	s_delay_alu instid0(VALU_DEP_1) | instskip(NEXT) | instid1(VALU_DEP_1)
	v_lshrrev_b16 v9, 1, v9
	v_and_b32_e32 v9, 0x7f, v9
	s_delay_alu instid0(VALU_DEP_1) | instskip(NEXT) | instid1(VALU_DEP_1)
	v_add_nc_u16 v8, v9, v8
	v_lshrrev_b16 v55, 3, v8
	s_delay_alu instid0(VALU_DEP_1) | instskip(NEXT) | instid1(VALU_DEP_1)
	v_mul_lo_u16 v8, v55, 11
	v_sub_nc_u16 v8, v54, v8
	s_delay_alu instid0(VALU_DEP_1) | instskip(NEXT) | instid1(VALU_DEP_1)
	v_and_b32_e32 v98, 0xff, v8
	v_lshlrev_b32_e32 v36, 7, v98
	s_clause 0x7
	global_load_b128 v[8:11], v36, s[8:9]
	global_load_b128 v[12:15], v36, s[8:9] offset:112
	global_load_b128 v[16:19], v36, s[8:9] offset:16
	;; [unrolled: 1-line block ×7, first 2 shown]
	ds_load_b128 v[40:43], v138 offset:704
	ds_load_b128 v[44:47], v138 offset:5632
	;; [unrolled: 1-line block ×7, first 2 shown]
	s_wait_loadcnt_dscnt 0x706
	v_mul_f64_e32 v[74:75], v[42:43], v[10:11]
	v_mul_f64_e32 v[10:11], v[40:41], v[10:11]
	s_wait_loadcnt_dscnt 0x605
	v_mul_f64_e32 v[76:77], v[46:47], v[14:15]
	v_mul_f64_e32 v[14:15], v[44:45], v[14:15]
	s_wait_loadcnt_dscnt 0x504
	v_mul_f64_e32 v[78:79], v[50:51], v[18:19]
	v_mul_f64_e32 v[18:19], v[48:49], v[18:19]
	s_wait_loadcnt_dscnt 0x403
	v_mul_f64_e32 v[80:81], v[60:61], v[22:23]
	s_wait_loadcnt_dscnt 0x302
	v_mul_f64_e32 v[82:83], v[64:65], v[26:27]
	v_mul_f64_e32 v[22:23], v[58:59], v[22:23]
	;; [unrolled: 1-line block ×3, first 2 shown]
	s_wait_loadcnt_dscnt 0x201
	v_mul_f64_e32 v[84:85], v[68:69], v[30:31]
	v_mul_f64_e32 v[30:31], v[66:67], v[30:31]
	v_fma_f64 v[40:41], v[40:41], v[8:9], -v[74:75]
	v_fma_f64 v[42:43], v[42:43], v[8:9], v[10:11]
	v_fma_f64 v[44:45], v[44:45], v[12:13], -v[76:77]
	v_fma_f64 v[12:13], v[46:47], v[12:13], v[14:15]
	;; [unrolled: 2-line block ×3, first 2 shown]
	v_fma_f64 v[18:19], v[58:59], v[20:21], -v[80:81]
	v_fma_f64 v[48:49], v[62:63], v[24:25], -v[82:83]
	v_fma_f64 v[20:21], v[60:61], v[20:21], v[22:23]
	v_fma_f64 v[22:23], v[64:65], v[24:25], v[26:27]
	v_fma_f64 v[24:25], v[66:67], v[28:29], -v[84:85]
	v_fma_f64 v[26:27], v[68:69], v[28:29], v[30:31]
	ds_load_b128 v[8:11], v138 offset:4224
	s_wait_loadcnt_dscnt 0x101
	v_mul_f64_e32 v[28:29], v[72:73], v[34:35]
	v_mul_f64_e32 v[30:31], v[70:71], v[34:35]
	v_add_f64_e64 v[50:51], v[40:41], -v[44:45]
	v_add_f64_e64 v[58:59], v[42:43], -v[12:13]
	v_add_f64_e32 v[42:43], v[42:43], v[12:13]
	ds_load_b128 v[12:15], v138
	s_wait_loadcnt_dscnt 0x1
	v_mul_f64_e32 v[34:35], v[10:11], v[38:39]
	v_mul_f64_e32 v[38:39], v[8:9], v[38:39]
	v_add_f64_e32 v[40:41], v[40:41], v[44:45]
	v_add_f64_e32 v[44:45], v[18:19], v[48:49]
	v_add_f64_e64 v[60:61], v[18:19], -v[48:49]
	v_add_f64_e64 v[62:63], v[20:21], -v[22:23]
	v_add_f64_e32 v[64:65], v[46:47], v[24:25]
	v_add_f64_e32 v[66:67], v[16:17], v[26:27]
	;; [unrolled: 1-line block ×3, first 2 shown]
	v_fma_f64 v[28:29], v[70:71], v[32:33], -v[28:29]
	v_fma_f64 v[30:31], v[72:73], v[32:33], v[30:31]
	v_add_f64_e64 v[24:25], v[46:47], -v[24:25]
	v_add_f64_e64 v[16:17], v[16:17], -v[26:27]
	global_wb scope:SCOPE_SE
	s_wait_dscnt 0x0
	s_barrier_signal -1
	s_barrier_wait -1
	global_inv scope:SCOPE_SE
	s_wait_alu 0xfffe
	v_mul_f64_e32 v[26:27], s[4:5], v[50:51]
	v_mul_f64_e32 v[32:33], s[4:5], v[58:59]
	s_mov_b32 s5, 0xbfe491b7
	v_fma_f64 v[8:9], v[8:9], v[36:37], -v[34:35]
	v_fma_f64 v[10:11], v[10:11], v[36:37], v[38:39]
	v_fma_f64 v[34:35], v[40:41], s[10:11], v[12:13]
	;; [unrolled: 1-line block ×4, first 2 shown]
	v_mul_f64_e32 v[46:47], s[0:1], v[60:61]
	v_mul_f64_e32 v[70:71], s[0:1], v[62:63]
	v_fma_f64 v[72:73], v[64:65], s[10:11], v[12:13]
	v_fma_f64 v[74:75], v[66:67], s[10:11], v[14:15]
	;; [unrolled: 1-line block ×3, first 2 shown]
	s_wait_alu 0xfffe
	v_mul_f64_e32 v[78:79], s[4:5], v[62:63]
	v_mul_f64_e32 v[80:81], s[4:5], v[60:61]
	v_add_f64_e32 v[86:87], v[64:65], v[40:41]
	v_add_f64_e32 v[88:89], v[66:67], v[42:43]
	s_mov_b32 s10, 0x7e0b738b
	s_mov_b32 s11, 0x3fc63a1a
	v_fma_f64 v[26:27], v[24:25], s[0:1], v[26:27]
	v_add_f64_e32 v[82:83], v[28:29], v[8:9]
	v_add_f64_e32 v[84:85], v[30:31], v[10:11]
	v_add_f64_e64 v[8:9], v[28:29], -v[8:9]
	v_add_f64_e64 v[10:11], v[30:31], -v[10:11]
	v_fma_f64 v[28:29], v[16:17], s[0:1], v[32:33]
	s_wait_alu 0xfffe
	v_fma_f64 v[30:31], v[64:65], s[10:11], v[34:35]
	v_fma_f64 v[32:33], v[66:67], s[10:11], v[36:37]
	;; [unrolled: 1-line block ×3, first 2 shown]
	v_fma_f64 v[36:37], v[24:25], s[4:5], -v[46:47]
	v_fma_f64 v[38:39], v[16:17], s[4:5], -v[70:71]
	v_fma_f64 v[46:47], v[44:45], s[10:11], v[72:73]
	v_fma_f64 v[70:71], v[68:69], s[10:11], v[74:75]
	;; [unrolled: 1-line block ×5, first 2 shown]
	v_add_f64_e32 v[94:95], v[44:45], v[86:87]
	v_add_f64_e32 v[96:97], v[68:69], v[88:89]
	s_mov_b32 s0, 0xe8584cab
	s_mov_b32 s1, 0x3febb67a
	;; [unrolled: 1-line block ×3, first 2 shown]
	s_wait_alu 0xfffe
	s_mov_b32 s4, s0
	v_add_f64_e32 v[78:79], v[60:61], v[50:51]
	v_add_f64_e32 v[80:81], v[62:63], v[58:59]
	s_mov_b32 s10, 0x748a0bf8
	s_mov_b32 s11, 0x3fd5e3a8
	v_add_f64_e32 v[86:87], v[82:83], v[86:87]
	v_add_f64_e32 v[88:89], v[84:85], v[88:89]
	v_fma_f64 v[26:27], v[8:9], s[0:1], v[26:27]
	v_add_f64_e32 v[90:91], v[12:13], v[82:83]
	v_fma_f64 v[28:29], v[10:11], s[0:1], v[28:29]
	v_fma_f64 v[30:31], v[82:83], -0.5, v[30:31]
	v_fma_f64 v[32:33], v[84:85], -0.5, v[32:33]
	;; [unrolled: 1-line block ×3, first 2 shown]
	v_fma_f64 v[36:37], v[8:9], s[0:1], v[36:37]
	v_fma_f64 v[38:39], v[10:11], s[0:1], v[38:39]
	v_fma_f64 v[46:47], v[82:83], -0.5, v[46:47]
	v_fma_f64 v[70:71], v[84:85], -0.5, v[70:71]
	v_add_f64_e32 v[92:93], v[14:15], v[84:85]
	v_fma_f64 v[72:73], v[84:85], -0.5, v[72:73]
	s_wait_alu 0xfffe
	v_fma_f64 v[10:11], v[10:11], s[4:5], v[74:75]
	v_fma_f64 v[8:9], v[8:9], s[4:5], v[76:77]
	v_add_f64_e64 v[74:75], v[78:79], -v[24:25]
	v_add_f64_e64 v[76:77], v[80:81], -v[16:17]
	v_add_f64_e32 v[18:19], v[18:19], v[86:87]
	v_add_f64_e32 v[20:21], v[20:21], v[88:89]
	v_fma_f64 v[60:61], v[60:61], s[10:11], v[26:27]
	v_fma_f64 v[78:79], v[94:95], -0.5, v[90:91]
	v_fma_f64 v[62:63], v[62:63], s[10:11], v[28:29]
	v_fma_f64 v[26:27], v[44:45], s[12:13], v[30:31]
	;; [unrolled: 1-line block ×8, first 2 shown]
	v_fma_f64 v[80:81], v[96:97], -0.5, v[92:93]
	v_fma_f64 v[38:39], v[66:67], s[12:13], v[72:73]
	v_fma_f64 v[40:41], v[16:17], s[10:11], v[10:11]
	;; [unrolled: 1-line block ×3, first 2 shown]
	v_mul_f64_e32 v[8:9], s[0:1], v[74:75]
	v_mul_f64_e32 v[10:11], s[0:1], v[76:77]
	v_add_f64_e32 v[46:47], v[48:49], v[18:19]
	v_add_f64_e32 v[48:49], v[22:23], v[20:21]
	v_fma_f64 v[16:17], v[76:77], s[0:1], v[78:79]
	v_cmp_gt_u32_e64 s0, 11, v54
	v_add_f64_e32 v[20:21], v[62:63], v[26:27]
	v_add_f64_e64 v[22:23], v[28:29], -v[60:61]
	v_add_f64_e32 v[24:25], v[36:37], v[32:33]
	v_add_f64_e64 v[26:27], v[34:35], -v[44:45]
	v_fma_f64 v[18:19], v[74:75], s[4:5], v[80:81]
	v_add_f64_e32 v[28:29], v[40:41], v[30:31]
	v_add_f64_e64 v[30:31], v[38:39], -v[42:43]
	v_add_f64_e32 v[12:13], v[12:13], v[46:47]
	v_add_f64_e32 v[14:15], v[14:15], v[48:49]
	v_fma_f64 v[32:33], v[10:11], -2.0, v[16:17]
	v_fma_f64 v[10:11], v[60:61], 2.0, v[22:23]
	v_fma_f64 v[36:37], v[36:37], -2.0, v[24:25]
	v_fma_f64 v[38:39], v[44:45], 2.0, v[26:27]
	v_fma_f64 v[34:35], v[8:9], 2.0, v[18:19]
	v_fma_f64 v[8:9], v[62:63], -2.0, v[20:21]
	v_fma_f64 v[40:41], v[40:41], -2.0, v[28:29]
	v_fma_f64 v[42:43], v[42:43], 2.0, v[30:31]
	v_and_b32_e32 v44, 0xffff, v55
	v_lshlrev_b32_e32 v45, 4, v98
	s_delay_alu instid0(VALU_DEP_2) | instskip(NEXT) | instid1(VALU_DEP_1)
	v_mul_u32_u24_e32 v44, 0x630, v44
	v_add3_u32 v44, 0, v44, v45
	ds_store_b128 v44, v[12:15]
	ds_store_b128 v44, v[20:23] offset:176
	ds_store_b128 v44, v[28:31] offset:352
	ds_store_b128 v44, v[16:19] offset:528
	ds_store_b128 v44, v[24:27] offset:704
	ds_store_b128 v44, v[36:39] offset:880
	ds_store_b128 v44, v[8:11] offset:1408
	ds_store_b128 v44, v[32:35] offset:1056
	ds_store_b128 v44, v[40:43] offset:1232
	global_wb scope:SCOPE_SE
	s_wait_dscnt 0x0
	s_barrier_signal -1
	s_barrier_wait -1
	global_inv scope:SCOPE_SE
	ds_load_b128 v[16:19], v138
	ds_load_b128 v[20:23], v138 offset:704
	ds_load_b128 v[36:39], v138 offset:1584
	;; [unrolled: 1-line block ×7, first 2 shown]
                                        ; implicit-def: $vgpr14_vgpr15
	s_and_saveexec_b32 s1, s0
	s_cbranch_execz .LBB0_17
; %bb.16:
	ds_load_b128 v[8:11], v138 offset:1408
	ds_load_b128 v[0:3], v138 offset:2992
	ds_load_b128 v[4:7], v138 offset:4576
	ds_load_b128 v[12:15], v138 offset:6160
.LBB0_17:
	s_wait_alu 0xfffe
	s_or_b32 exec_lo, exec_lo, s1
	v_mul_u32_u24_e32 v48, 3, v54
	s_delay_alu instid0(VALU_DEP_1)
	v_lshlrev_b32_e32 v55, 4, v48
	s_clause 0x5
	global_load_b128 v[48:51], v55, s[8:9] offset:1408
	global_load_b128 v[58:61], v55, s[8:9] offset:1424
	;; [unrolled: 1-line block ×6, first 2 shown]
	global_wb scope:SCOPE_SE
	s_wait_loadcnt_dscnt 0x0
	s_barrier_signal -1
	s_barrier_wait -1
	global_inv scope:SCOPE_SE
	v_mul_f64_e32 v[78:79], v[38:39], v[50:51]
	v_mul_f64_e32 v[50:51], v[36:37], v[50:51]
	;; [unrolled: 1-line block ×12, first 2 shown]
	v_fma_f64 v[36:37], v[36:37], v[48:49], -v[78:79]
	v_fma_f64 v[38:39], v[38:39], v[48:49], v[50:51]
	v_fma_f64 v[40:41], v[40:41], v[58:59], -v[80:81]
	v_fma_f64 v[42:43], v[42:43], v[58:59], v[60:61]
	;; [unrolled: 2-line block ×6, first 2 shown]
	v_add_f64_e64 v[40:41], v[16:17], -v[40:41]
	v_add_f64_e64 v[42:43], v[18:19], -v[42:43]
	;; [unrolled: 1-line block ×8, first 2 shown]
	v_fma_f64 v[58:59], v[16:17], 2.0, -v[40:41]
	v_fma_f64 v[60:61], v[18:19], 2.0, -v[42:43]
	v_fma_f64 v[32:33], v[36:37], 2.0, -v[44:45]
	v_fma_f64 v[34:35], v[38:39], 2.0, -v[46:47]
	v_add_f64_e64 v[16:17], v[40:41], -v[46:47]
	v_add_f64_e32 v[18:19], v[42:43], v[44:45]
	v_fma_f64 v[62:63], v[20:21], 2.0, -v[48:49]
	v_fma_f64 v[64:65], v[22:23], 2.0, -v[50:51]
	;; [unrolled: 1-line block ×4, first 2 shown]
	v_add_f64_e64 v[20:21], v[48:49], -v[30:31]
	v_add_f64_e32 v[22:23], v[50:51], v[28:29]
	v_add_f64_e64 v[24:25], v[58:59], -v[32:33]
	v_add_f64_e64 v[26:27], v[60:61], -v[34:35]
	v_fma_f64 v[32:33], v[40:41], 2.0, -v[16:17]
	v_fma_f64 v[34:35], v[42:43], 2.0, -v[18:19]
	v_add_f64_e64 v[28:29], v[62:63], -v[36:37]
	v_add_f64_e64 v[30:31], v[64:65], -v[38:39]
	v_fma_f64 v[36:37], v[48:49], 2.0, -v[20:21]
	v_fma_f64 v[38:39], v[50:51], 2.0, -v[22:23]
	;; [unrolled: 1-line block ×6, first 2 shown]
	ds_store_b128 v138, v[32:35] offset:1584
	ds_store_b128 v138, v[36:39] offset:2288
	;; [unrolled: 1-line block ×4, first 2 shown]
	ds_store_b128 v138, v[40:43]
	ds_store_b128 v138, v[44:47] offset:704
	ds_store_b128 v138, v[16:19] offset:4752
	;; [unrolled: 1-line block ×3, first 2 shown]
	s_and_saveexec_b32 s1, s0
	s_cbranch_execz .LBB0_19
; %bb.18:
	v_add_nc_u32_e32 v16, 0x58, v54
	v_add_nc_u32_e32 v17, -11, v54
	s_delay_alu instid0(VALU_DEP_1) | instskip(SKIP_1) | instid1(VALU_DEP_2)
	v_cndmask_b32_e64 v16, v17, v16, s0
	v_mov_b32_e32 v17, 0
	v_mul_i32_i24_e32 v16, 3, v16
	s_delay_alu instid0(VALU_DEP_1) | instskip(NEXT) | instid1(VALU_DEP_1)
	v_lshlrev_b64_e32 v[16:17], 4, v[16:17]
	v_add_co_u32 v24, s0, s8, v16
	s_wait_alu 0xf1ff
	s_delay_alu instid0(VALU_DEP_2)
	v_add_co_ci_u32_e64 v25, s0, s9, v17, s0
	s_clause 0x2
	global_load_b128 v[16:19], v[24:25], off offset:1424
	global_load_b128 v[20:23], v[24:25], off offset:1408
	;; [unrolled: 1-line block ×3, first 2 shown]
	s_wait_loadcnt 0x2
	v_mul_f64_e32 v[28:29], v[4:5], v[18:19]
	s_wait_loadcnt 0x1
	v_mul_f64_e32 v[30:31], v[2:3], v[22:23]
	v_mul_f64_e32 v[22:23], v[0:1], v[22:23]
	s_wait_loadcnt 0x0
	v_mul_f64_e32 v[32:33], v[12:13], v[26:27]
	v_mul_f64_e32 v[18:19], v[6:7], v[18:19]
	;; [unrolled: 1-line block ×3, first 2 shown]
	v_fma_f64 v[6:7], v[6:7], v[16:17], v[28:29]
	v_fma_f64 v[0:1], v[0:1], v[20:21], -v[30:31]
	v_fma_f64 v[2:3], v[2:3], v[20:21], v[22:23]
	v_fma_f64 v[14:15], v[14:15], v[24:25], v[32:33]
	v_fma_f64 v[4:5], v[4:5], v[16:17], -v[18:19]
	v_fma_f64 v[12:13], v[12:13], v[24:25], -v[26:27]
	v_add_f64_e64 v[16:17], v[10:11], -v[6:7]
	s_delay_alu instid0(VALU_DEP_4) | instskip(NEXT) | instid1(VALU_DEP_4)
	v_add_f64_e64 v[14:15], v[2:3], -v[14:15]
	v_add_f64_e64 v[18:19], v[8:9], -v[4:5]
	s_delay_alu instid0(VALU_DEP_4) | instskip(NEXT) | instid1(VALU_DEP_4)
	v_add_f64_e64 v[4:5], v[0:1], -v[12:13]
	v_fma_f64 v[12:13], v[10:11], 2.0, -v[16:17]
	s_delay_alu instid0(VALU_DEP_4) | instskip(NEXT) | instid1(VALU_DEP_4)
	v_fma_f64 v[6:7], v[2:3], 2.0, -v[14:15]
	v_fma_f64 v[8:9], v[8:9], 2.0, -v[18:19]
	s_delay_alu instid0(VALU_DEP_4) | instskip(SKIP_1) | instid1(VALU_DEP_4)
	v_fma_f64 v[0:1], v[0:1], 2.0, -v[4:5]
	v_add_f64_e32 v[2:3], v[16:17], v[4:5]
	v_add_f64_e64 v[6:7], v[12:13], -v[6:7]
	s_delay_alu instid0(VALU_DEP_3) | instskip(SKIP_1) | instid1(VALU_DEP_4)
	v_add_f64_e64 v[4:5], v[8:9], -v[0:1]
	v_add_f64_e64 v[0:1], v[18:19], -v[14:15]
	v_fma_f64 v[10:11], v[16:17], 2.0, -v[2:3]
	s_delay_alu instid0(VALU_DEP_4) | instskip(NEXT) | instid1(VALU_DEP_4)
	v_fma_f64 v[14:15], v[12:13], 2.0, -v[6:7]
	v_fma_f64 v[12:13], v[8:9], 2.0, -v[4:5]
	s_delay_alu instid0(VALU_DEP_4)
	v_fma_f64 v[8:9], v[18:19], 2.0, -v[0:1]
	ds_store_b128 v138, v[12:15] offset:1408
	ds_store_b128 v138, v[8:11] offset:2992
	;; [unrolled: 1-line block ×4, first 2 shown]
.LBB0_19:
	s_wait_alu 0xfffe
	s_or_b32 exec_lo, exec_lo, s1
	global_wb scope:SCOPE_SE
	s_wait_dscnt 0x0
	s_barrier_signal -1
	s_barrier_wait -1
	global_inv scope:SCOPE_SE
	ds_load_b128 v[4:7], v138
	v_lshlrev_b32_e32 v0, 4, v54
	s_mov_b32 s1, exec_lo
                                        ; implicit-def: $vgpr2_vgpr3
                                        ; implicit-def: $vgpr8_vgpr9
                                        ; implicit-def: $vgpr10_vgpr11
	s_delay_alu instid0(VALU_DEP_1)
	v_sub_nc_u32_e32 v12, 0, v0
	v_cmpx_ne_u32_e32 0, v54
	s_wait_alu 0xfffe
	s_xor_b32 s1, exec_lo, s1
	s_cbranch_execz .LBB0_21
; %bb.20:
	v_mov_b32_e32 v55, 0
	s_delay_alu instid0(VALU_DEP_1) | instskip(NEXT) | instid1(VALU_DEP_1)
	v_lshlrev_b64_e32 v[0:1], 4, v[54:55]
	v_add_co_u32 v0, s0, s8, v0
	s_wait_alu 0xf1ff
	s_delay_alu instid0(VALU_DEP_2)
	v_add_co_ci_u32_e64 v1, s0, s9, v1, s0
	global_load_b128 v[13:16], v[0:1], off offset:6160
	ds_load_b128 v[0:3], v12 offset:6336
	s_wait_dscnt 0x0
	v_add_f64_e64 v[8:9], v[4:5], -v[0:1]
	v_add_f64_e32 v[10:11], v[6:7], v[2:3]
	v_add_f64_e64 v[2:3], v[6:7], -v[2:3]
	v_add_f64_e32 v[0:1], v[4:5], v[0:1]
	s_delay_alu instid0(VALU_DEP_4) | instskip(NEXT) | instid1(VALU_DEP_4)
	v_mul_f64_e32 v[6:7], 0.5, v[8:9]
	v_mul_f64_e32 v[4:5], 0.5, v[10:11]
	s_delay_alu instid0(VALU_DEP_4) | instskip(SKIP_1) | instid1(VALU_DEP_3)
	v_mul_f64_e32 v[2:3], 0.5, v[2:3]
	s_wait_loadcnt 0x0
	v_mul_f64_e32 v[8:9], v[6:7], v[15:16]
	s_delay_alu instid0(VALU_DEP_2) | instskip(SKIP_1) | instid1(VALU_DEP_3)
	v_fma_f64 v[10:11], v[4:5], v[15:16], v[2:3]
	v_fma_f64 v[2:3], v[4:5], v[15:16], -v[2:3]
	v_fma_f64 v[17:18], v[0:1], 0.5, v[8:9]
	v_fma_f64 v[0:1], v[0:1], 0.5, -v[8:9]
	s_delay_alu instid0(VALU_DEP_4) | instskip(NEXT) | instid1(VALU_DEP_4)
	v_fma_f64 v[8:9], -v[13:14], v[6:7], v[10:11]
	v_fma_f64 v[2:3], -v[13:14], v[6:7], v[2:3]
	v_dual_mov_b32 v10, v54 :: v_dual_mov_b32 v11, v55
	v_fma_f64 v[15:16], v[4:5], v[13:14], v[17:18]
	v_fma_f64 v[0:1], -v[4:5], v[13:14], v[0:1]
                                        ; implicit-def: $vgpr4_vgpr5
	ds_store_b64 v138, v[15:16]
.LBB0_21:
	s_wait_alu 0xfffe
	s_and_not1_saveexec_b32 s0, s1
	s_cbranch_execz .LBB0_23
; %bb.22:
	s_wait_dscnt 0x0
	v_add_f64_e32 v[13:14], v[4:5], v[6:7]
	v_add_f64_e64 v[0:1], v[4:5], -v[6:7]
	v_mov_b32_e32 v6, 0
	v_mov_b32_e32 v8, 0
	v_dual_mov_b32 v9, 0 :: v_dual_mov_b32 v10, 0
	s_delay_alu instid0(VALU_DEP_2)
	v_mov_b32_e32 v2, v8
	ds_load_b64 v[4:5], v6 offset:3176
	v_mov_b32_e32 v11, 0
	v_mov_b32_e32 v3, v9
	s_wait_dscnt 0x0
	v_xor_b32_e32 v5, 0x80000000, v5
	ds_store_b64 v138, v[13:14]
	ds_store_b64 v6, v[4:5] offset:3176
.LBB0_23:
	s_wait_alu 0xfffe
	s_or_b32 exec_lo, exec_lo, s0
	s_wait_dscnt 0x0
	v_lshlrev_b64_e32 v[4:5], 4, v[10:11]
	s_add_nc_u64 s[0:1], s[8:9], 0x1810
	s_wait_alu 0xfffe
	s_delay_alu instid0(VALU_DEP_1) | instskip(SKIP_1) | instid1(VALU_DEP_2)
	v_add_co_u32 v4, s0, s0, v4
	s_wait_alu 0xf1ff
	v_add_co_ci_u32_e64 v5, s0, s1, v5, s0
	s_mov_b32 s1, exec_lo
	s_clause 0x1
	global_load_b128 v[13:16], v[4:5], off offset:704
	global_load_b128 v[17:20], v[4:5], off offset:1408
	ds_store_b64 v138, v[8:9] offset:8
	ds_store_b128 v12, v[0:3] offset:6336
	ds_load_b128 v[0:3], v138 offset:704
	ds_load_b128 v[6:9], v12 offset:5632
	s_wait_dscnt 0x0
	v_add_f64_e64 v[10:11], v[0:1], -v[6:7]
	v_add_f64_e32 v[21:22], v[2:3], v[8:9]
	v_add_f64_e64 v[2:3], v[2:3], -v[8:9]
	v_add_f64_e32 v[0:1], v[0:1], v[6:7]
	s_delay_alu instid0(VALU_DEP_4) | instskip(NEXT) | instid1(VALU_DEP_4)
	v_mul_f64_e32 v[8:9], 0.5, v[10:11]
	v_mul_f64_e32 v[10:11], 0.5, v[21:22]
	s_delay_alu instid0(VALU_DEP_4) | instskip(SKIP_1) | instid1(VALU_DEP_3)
	v_mul_f64_e32 v[2:3], 0.5, v[2:3]
	s_wait_loadcnt 0x1
	v_mul_f64_e32 v[6:7], v[8:9], v[15:16]
	s_delay_alu instid0(VALU_DEP_2) | instskip(SKIP_1) | instid1(VALU_DEP_3)
	v_fma_f64 v[21:22], v[10:11], v[15:16], v[2:3]
	v_fma_f64 v[15:16], v[10:11], v[15:16], -v[2:3]
	v_fma_f64 v[23:24], v[0:1], 0.5, v[6:7]
	v_fma_f64 v[6:7], v[0:1], 0.5, -v[6:7]
	s_delay_alu instid0(VALU_DEP_4) | instskip(NEXT) | instid1(VALU_DEP_4)
	v_fma_f64 v[2:3], -v[13:14], v[8:9], v[21:22]
	v_fma_f64 v[8:9], -v[13:14], v[8:9], v[15:16]
	s_delay_alu instid0(VALU_DEP_4) | instskip(NEXT) | instid1(VALU_DEP_4)
	v_fma_f64 v[0:1], v[10:11], v[13:14], v[23:24]
	v_fma_f64 v[6:7], -v[10:11], v[13:14], v[6:7]
	global_load_b128 v[13:16], v[4:5], off offset:2112
	ds_store_b128 v138, v[0:3] offset:704
	ds_store_b128 v12, v[6:9] offset:5632
	ds_load_b128 v[0:3], v138 offset:1408
	ds_load_b128 v[6:9], v12 offset:4928
	s_wait_dscnt 0x0
	v_add_f64_e64 v[10:11], v[0:1], -v[6:7]
	v_add_f64_e32 v[21:22], v[2:3], v[8:9]
	v_add_f64_e64 v[2:3], v[2:3], -v[8:9]
	v_add_f64_e32 v[0:1], v[0:1], v[6:7]
	s_delay_alu instid0(VALU_DEP_4) | instskip(NEXT) | instid1(VALU_DEP_4)
	v_mul_f64_e32 v[8:9], 0.5, v[10:11]
	v_mul_f64_e32 v[10:11], 0.5, v[21:22]
	s_delay_alu instid0(VALU_DEP_4) | instskip(SKIP_1) | instid1(VALU_DEP_3)
	v_mul_f64_e32 v[2:3], 0.5, v[2:3]
	s_wait_loadcnt 0x1
	v_mul_f64_e32 v[6:7], v[8:9], v[19:20]
	s_delay_alu instid0(VALU_DEP_2) | instskip(SKIP_1) | instid1(VALU_DEP_3)
	v_fma_f64 v[21:22], v[10:11], v[19:20], v[2:3]
	v_fma_f64 v[19:20], v[10:11], v[19:20], -v[2:3]
	v_fma_f64 v[23:24], v[0:1], 0.5, v[6:7]
	v_fma_f64 v[6:7], v[0:1], 0.5, -v[6:7]
	s_delay_alu instid0(VALU_DEP_4) | instskip(NEXT) | instid1(VALU_DEP_4)
	v_fma_f64 v[2:3], -v[17:18], v[8:9], v[21:22]
	v_fma_f64 v[8:9], -v[17:18], v[8:9], v[19:20]
	s_delay_alu instid0(VALU_DEP_4) | instskip(NEXT) | instid1(VALU_DEP_4)
	v_fma_f64 v[0:1], v[10:11], v[17:18], v[23:24]
	v_fma_f64 v[6:7], -v[10:11], v[17:18], v[6:7]
	ds_store_b128 v138, v[0:3] offset:1408
	ds_store_b128 v12, v[6:9] offset:4928
	ds_load_b128 v[0:3], v138 offset:2112
	ds_load_b128 v[6:9], v12 offset:4224
	s_wait_dscnt 0x0
	v_add_f64_e64 v[10:11], v[0:1], -v[6:7]
	v_add_f64_e32 v[17:18], v[2:3], v[8:9]
	v_add_f64_e64 v[2:3], v[2:3], -v[8:9]
	v_add_f64_e32 v[0:1], v[0:1], v[6:7]
	s_delay_alu instid0(VALU_DEP_4) | instskip(NEXT) | instid1(VALU_DEP_4)
	v_mul_f64_e32 v[8:9], 0.5, v[10:11]
	v_mul_f64_e32 v[10:11], 0.5, v[17:18]
	s_delay_alu instid0(VALU_DEP_4) | instskip(SKIP_1) | instid1(VALU_DEP_3)
	v_mul_f64_e32 v[2:3], 0.5, v[2:3]
	s_wait_loadcnt 0x0
	v_mul_f64_e32 v[6:7], v[8:9], v[15:16]
	s_delay_alu instid0(VALU_DEP_2) | instskip(SKIP_1) | instid1(VALU_DEP_3)
	v_fma_f64 v[17:18], v[10:11], v[15:16], v[2:3]
	v_fma_f64 v[15:16], v[10:11], v[15:16], -v[2:3]
	v_fma_f64 v[19:20], v[0:1], 0.5, v[6:7]
	v_fma_f64 v[6:7], v[0:1], 0.5, -v[6:7]
	s_delay_alu instid0(VALU_DEP_4) | instskip(NEXT) | instid1(VALU_DEP_4)
	v_fma_f64 v[2:3], -v[13:14], v[8:9], v[17:18]
	v_fma_f64 v[8:9], -v[13:14], v[8:9], v[15:16]
	s_delay_alu instid0(VALU_DEP_4) | instskip(NEXT) | instid1(VALU_DEP_4)
	v_fma_f64 v[0:1], v[10:11], v[13:14], v[19:20]
	v_fma_f64 v[6:7], -v[10:11], v[13:14], v[6:7]
	ds_store_b128 v138, v[0:3] offset:2112
	ds_store_b128 v12, v[6:9] offset:4224
	v_cmpx_gt_u32_e32 22, v54
	s_cbranch_execz .LBB0_25
; %bb.24:
	global_load_b128 v[0:3], v[4:5], off offset:2816
	ds_load_b128 v[4:7], v138 offset:2816
	ds_load_b128 v[8:11], v12 offset:3520
	s_wait_dscnt 0x0
	v_add_f64_e64 v[13:14], v[4:5], -v[8:9]
	v_add_f64_e32 v[15:16], v[6:7], v[10:11]
	v_add_f64_e64 v[6:7], v[6:7], -v[10:11]
	v_add_f64_e32 v[4:5], v[4:5], v[8:9]
	s_delay_alu instid0(VALU_DEP_4) | instskip(NEXT) | instid1(VALU_DEP_4)
	v_mul_f64_e32 v[10:11], 0.5, v[13:14]
	v_mul_f64_e32 v[13:14], 0.5, v[15:16]
	s_delay_alu instid0(VALU_DEP_4) | instskip(SKIP_1) | instid1(VALU_DEP_3)
	v_mul_f64_e32 v[6:7], 0.5, v[6:7]
	s_wait_loadcnt 0x0
	v_mul_f64_e32 v[8:9], v[10:11], v[2:3]
	s_delay_alu instid0(VALU_DEP_2) | instskip(SKIP_1) | instid1(VALU_DEP_3)
	v_fma_f64 v[15:16], v[13:14], v[2:3], v[6:7]
	v_fma_f64 v[2:3], v[13:14], v[2:3], -v[6:7]
	v_fma_f64 v[6:7], v[4:5], 0.5, v[8:9]
	v_fma_f64 v[17:18], v[4:5], 0.5, -v[8:9]
	s_delay_alu instid0(VALU_DEP_4) | instskip(NEXT) | instid1(VALU_DEP_4)
	v_fma_f64 v[4:5], -v[0:1], v[10:11], v[15:16]
	v_fma_f64 v[8:9], -v[0:1], v[10:11], v[2:3]
	s_delay_alu instid0(VALU_DEP_4) | instskip(NEXT) | instid1(VALU_DEP_4)
	v_fma_f64 v[2:3], v[13:14], v[0:1], v[6:7]
	v_fma_f64 v[6:7], -v[13:14], v[0:1], v[17:18]
	ds_store_b128 v138, v[2:5] offset:2816
	ds_store_b128 v12, v[6:9] offset:3520
.LBB0_25:
	s_wait_alu 0xfffe
	s_or_b32 exec_lo, exec_lo, s1
	global_wb scope:SCOPE_SE
	s_wait_dscnt 0x0
	s_barrier_signal -1
	s_barrier_wait -1
	global_inv scope:SCOPE_SE
	s_and_saveexec_b32 s0, vcc_lo
	s_cbranch_execz .LBB0_28
; %bb.26:
	v_mul_lo_u32 v2, s3, v56
	v_mul_lo_u32 v3, s2, v57
	v_mad_co_u64_u32 v[0:1], null, s2, v56, 0
	v_dual_mov_b32 v55, 0 :: v_dual_add_nc_u32 v12, 44, v54
	v_lshlrev_b64_e32 v[10:11], 4, v[52:53]
	v_lshl_add_u32 v31, v54, 4, 0
	s_delay_alu instid0(VALU_DEP_3)
	v_dual_mov_b32 v13, v55 :: v_dual_add_nc_u32 v14, 0x58, v54
	v_add3_u32 v1, v1, v3, v2
	v_lshlrev_b64_e32 v[16:17], 4, v[54:55]
	v_dual_mov_b32 v15, v55 :: v_dual_add_nc_u32 v24, 0x84, v54
	ds_load_b128 v[2:5], v31
	ds_load_b128 v[6:9], v31 offset:704
	v_lshlrev_b64_e32 v[0:1], 4, v[0:1]
	v_lshlrev_b64_e32 v[18:19], 4, v[12:13]
	;; [unrolled: 1-line block ×3, first 2 shown]
	v_dual_mov_b32 v25, v55 :: v_dual_add_nc_u32 v26, 0xb0, v54
	v_mov_b32_e32 v27, v55
	v_add_co_u32 v0, vcc_lo, s6, v0
	s_wait_alu 0xfffd
	v_add_co_ci_u32_e32 v1, vcc_lo, s7, v1, vcc_lo
	v_lshlrev_b64_e32 v[24:25], 4, v[24:25]
	s_delay_alu instid0(VALU_DEP_3) | instskip(SKIP_1) | instid1(VALU_DEP_3)
	v_add_co_u32 v0, vcc_lo, v0, v10
	s_wait_alu 0xfffd
	v_add_co_ci_u32_e32 v1, vcc_lo, v1, v11, vcc_lo
	v_add_nc_u32_e32 v30, 0x160, v54
	s_delay_alu instid0(VALU_DEP_3) | instskip(SKIP_1) | instid1(VALU_DEP_3)
	v_add_co_u32 v22, vcc_lo, v0, v16
	s_wait_alu 0xfffd
	v_add_co_ci_u32_e32 v23, vcc_lo, v1, v17, vcc_lo
	ds_load_b128 v[10:13], v31 offset:1408
	ds_load_b128 v[14:17], v31 offset:2112
	v_add_co_u32 v18, vcc_lo, v0, v18
	s_wait_alu 0xfffd
	v_add_co_ci_u32_e32 v19, vcc_lo, v1, v19, vcc_lo
	v_add_co_u32 v20, vcc_lo, v0, v20
	s_wait_alu 0xfffd
	v_add_co_ci_u32_e32 v21, vcc_lo, v1, v21, vcc_lo
	;; [unrolled: 3-line block ×3, first 2 shown]
	s_wait_dscnt 0x3
	global_store_b128 v[22:23], v[2:5], off
	s_wait_dscnt 0x2
	global_store_b128 v[18:19], v[6:9], off
	v_mov_b32_e32 v19, v55
	s_wait_dscnt 0x1
	global_store_b128 v[20:21], v[10:13], off
	s_wait_dscnt 0x0
	global_store_b128 v[24:25], v[14:17], off
	v_dual_mov_b32 v11, v55 :: v_dual_add_nc_u32 v10, 0xdc, v54
	v_add_nc_u32_e32 v12, 0x108, v54
	v_lshlrev_b64_e32 v[2:3], 4, v[26:27]
	v_dual_mov_b32 v13, v55 :: v_dual_add_nc_u32 v18, 0x134, v54
	s_delay_alu instid0(VALU_DEP_4) | instskip(NEXT) | instid1(VALU_DEP_3)
	v_lshlrev_b64_e32 v[10:11], 4, v[10:11]
	v_add_co_u32 v22, vcc_lo, v0, v2
	s_wait_alu 0xfffd
	s_delay_alu instid0(VALU_DEP_4) | instskip(NEXT) | instid1(VALU_DEP_3)
	v_add_co_ci_u32_e32 v23, vcc_lo, v1, v3, vcc_lo
	v_add_co_u32 v24, vcc_lo, v0, v10
	ds_load_b128 v[2:5], v31 offset:2816
	ds_load_b128 v[6:9], v31 offset:3520
	s_wait_alu 0xfffd
	v_add_co_ci_u32_e32 v25, vcc_lo, v1, v11, vcc_lo
	v_lshlrev_b64_e32 v[26:27], 4, v[12:13]
	ds_load_b128 v[10:13], v31 offset:4224
	ds_load_b128 v[14:17], v31 offset:4928
	v_lshlrev_b64_e32 v[28:29], 4, v[18:19]
	ds_load_b128 v[18:21], v31 offset:5632
	v_mov_b32_e32 v31, v55
	v_add_co_u32 v26, vcc_lo, v0, v26
	s_wait_alu 0xfffd
	v_add_co_ci_u32_e32 v27, vcc_lo, v1, v27, vcc_lo
	s_delay_alu instid0(VALU_DEP_3) | instskip(SKIP_3) | instid1(VALU_DEP_3)
	v_lshlrev_b64_e32 v[30:31], 4, v[30:31]
	v_add_co_u32 v28, vcc_lo, v0, v28
	s_wait_alu 0xfffd
	v_add_co_ci_u32_e32 v29, vcc_lo, v1, v29, vcc_lo
	v_add_co_u32 v30, vcc_lo, v0, v30
	s_wait_alu 0xfffd
	v_add_co_ci_u32_e32 v31, vcc_lo, v1, v31, vcc_lo
	v_cmp_eq_u32_e32 vcc_lo, 43, v54
	s_wait_dscnt 0x4
	global_store_b128 v[22:23], v[2:5], off
	s_wait_dscnt 0x3
	global_store_b128 v[24:25], v[6:9], off
	;; [unrolled: 2-line block ×5, first 2 shown]
	s_and_b32 exec_lo, exec_lo, vcc_lo
	s_cbranch_execz .LBB0_28
; %bb.27:
	ds_load_b128 v[2:5], v55 offset:6336
	s_wait_dscnt 0x0
	global_store_b128 v[0:1], v[2:5], off offset:6336
.LBB0_28:
	s_nop 0
	s_sendmsg sendmsg(MSG_DEALLOC_VGPRS)
	s_endpgm
	.section	.rodata,"a",@progbits
	.p2align	6, 0x0
	.amdhsa_kernel fft_rtc_fwd_len396_factors_11_9_4_wgs_44_tpt_44_dp_op_CI_CI_unitstride_sbrr_R2C_dirReg
		.amdhsa_group_segment_fixed_size 0
		.amdhsa_private_segment_fixed_size 0
		.amdhsa_kernarg_size 104
		.amdhsa_user_sgpr_count 2
		.amdhsa_user_sgpr_dispatch_ptr 0
		.amdhsa_user_sgpr_queue_ptr 0
		.amdhsa_user_sgpr_kernarg_segment_ptr 1
		.amdhsa_user_sgpr_dispatch_id 0
		.amdhsa_user_sgpr_private_segment_size 0
		.amdhsa_wavefront_size32 1
		.amdhsa_uses_dynamic_stack 0
		.amdhsa_enable_private_segment 0
		.amdhsa_system_sgpr_workgroup_id_x 1
		.amdhsa_system_sgpr_workgroup_id_y 0
		.amdhsa_system_sgpr_workgroup_id_z 0
		.amdhsa_system_sgpr_workgroup_info 0
		.amdhsa_system_vgpr_workitem_id 0
		.amdhsa_next_free_vgpr 167
		.amdhsa_next_free_sgpr 39
		.amdhsa_reserve_vcc 1
		.amdhsa_float_round_mode_32 0
		.amdhsa_float_round_mode_16_64 0
		.amdhsa_float_denorm_mode_32 3
		.amdhsa_float_denorm_mode_16_64 3
		.amdhsa_fp16_overflow 0
		.amdhsa_workgroup_processor_mode 1
		.amdhsa_memory_ordered 1
		.amdhsa_forward_progress 0
		.amdhsa_round_robin_scheduling 0
		.amdhsa_exception_fp_ieee_invalid_op 0
		.amdhsa_exception_fp_denorm_src 0
		.amdhsa_exception_fp_ieee_div_zero 0
		.amdhsa_exception_fp_ieee_overflow 0
		.amdhsa_exception_fp_ieee_underflow 0
		.amdhsa_exception_fp_ieee_inexact 0
		.amdhsa_exception_int_div_zero 0
	.end_amdhsa_kernel
	.text
.Lfunc_end0:
	.size	fft_rtc_fwd_len396_factors_11_9_4_wgs_44_tpt_44_dp_op_CI_CI_unitstride_sbrr_R2C_dirReg, .Lfunc_end0-fft_rtc_fwd_len396_factors_11_9_4_wgs_44_tpt_44_dp_op_CI_CI_unitstride_sbrr_R2C_dirReg
                                        ; -- End function
	.section	.AMDGPU.csdata,"",@progbits
; Kernel info:
; codeLenInByte = 8392
; NumSgprs: 41
; NumVgprs: 167
; ScratchSize: 0
; MemoryBound: 0
; FloatMode: 240
; IeeeMode: 1
; LDSByteSize: 0 bytes/workgroup (compile time only)
; SGPRBlocks: 5
; VGPRBlocks: 20
; NumSGPRsForWavesPerEU: 41
; NumVGPRsForWavesPerEU: 167
; Occupancy: 9
; WaveLimiterHint : 1
; COMPUTE_PGM_RSRC2:SCRATCH_EN: 0
; COMPUTE_PGM_RSRC2:USER_SGPR: 2
; COMPUTE_PGM_RSRC2:TRAP_HANDLER: 0
; COMPUTE_PGM_RSRC2:TGID_X_EN: 1
; COMPUTE_PGM_RSRC2:TGID_Y_EN: 0
; COMPUTE_PGM_RSRC2:TGID_Z_EN: 0
; COMPUTE_PGM_RSRC2:TIDIG_COMP_CNT: 0
	.text
	.p2alignl 7, 3214868480
	.fill 96, 4, 3214868480
	.type	__hip_cuid_943a2b98bc9106fa,@object ; @__hip_cuid_943a2b98bc9106fa
	.section	.bss,"aw",@nobits
	.globl	__hip_cuid_943a2b98bc9106fa
__hip_cuid_943a2b98bc9106fa:
	.byte	0                               ; 0x0
	.size	__hip_cuid_943a2b98bc9106fa, 1

	.ident	"AMD clang version 19.0.0git (https://github.com/RadeonOpenCompute/llvm-project roc-6.4.0 25133 c7fe45cf4b819c5991fe208aaa96edf142730f1d)"
	.section	".note.GNU-stack","",@progbits
	.addrsig
	.addrsig_sym __hip_cuid_943a2b98bc9106fa
	.amdgpu_metadata
---
amdhsa.kernels:
  - .args:
      - .actual_access:  read_only
        .address_space:  global
        .offset:         0
        .size:           8
        .value_kind:     global_buffer
      - .offset:         8
        .size:           8
        .value_kind:     by_value
      - .actual_access:  read_only
        .address_space:  global
        .offset:         16
        .size:           8
        .value_kind:     global_buffer
      - .actual_access:  read_only
        .address_space:  global
        .offset:         24
        .size:           8
        .value_kind:     global_buffer
      - .actual_access:  read_only
        .address_space:  global
        .offset:         32
        .size:           8
        .value_kind:     global_buffer
      - .offset:         40
        .size:           8
        .value_kind:     by_value
      - .actual_access:  read_only
        .address_space:  global
        .offset:         48
        .size:           8
        .value_kind:     global_buffer
      - .actual_access:  read_only
        .address_space:  global
        .offset:         56
        .size:           8
        .value_kind:     global_buffer
      - .offset:         64
        .size:           4
        .value_kind:     by_value
      - .actual_access:  read_only
        .address_space:  global
        .offset:         72
        .size:           8
        .value_kind:     global_buffer
      - .actual_access:  read_only
        .address_space:  global
        .offset:         80
        .size:           8
        .value_kind:     global_buffer
      - .actual_access:  read_only
        .address_space:  global
        .offset:         88
        .size:           8
        .value_kind:     global_buffer
      - .actual_access:  write_only
        .address_space:  global
        .offset:         96
        .size:           8
        .value_kind:     global_buffer
    .group_segment_fixed_size: 0
    .kernarg_segment_align: 8
    .kernarg_segment_size: 104
    .language:       OpenCL C
    .language_version:
      - 2
      - 0
    .max_flat_workgroup_size: 44
    .name:           fft_rtc_fwd_len396_factors_11_9_4_wgs_44_tpt_44_dp_op_CI_CI_unitstride_sbrr_R2C_dirReg
    .private_segment_fixed_size: 0
    .sgpr_count:     41
    .sgpr_spill_count: 0
    .symbol:         fft_rtc_fwd_len396_factors_11_9_4_wgs_44_tpt_44_dp_op_CI_CI_unitstride_sbrr_R2C_dirReg.kd
    .uniform_work_group_size: 1
    .uses_dynamic_stack: false
    .vgpr_count:     167
    .vgpr_spill_count: 0
    .wavefront_size: 32
    .workgroup_processor_mode: 1
amdhsa.target:   amdgcn-amd-amdhsa--gfx1201
amdhsa.version:
  - 1
  - 2
...

	.end_amdgpu_metadata
